;; amdgpu-corpus repo=ROCm/rocFFT kind=compiled arch=gfx1201 opt=O3
	.text
	.amdgcn_target "amdgcn-amd-amdhsa--gfx1201"
	.amdhsa_code_object_version 6
	.protected	bluestein_single_back_len256_dim1_sp_op_CI_CI ; -- Begin function bluestein_single_back_len256_dim1_sp_op_CI_CI
	.globl	bluestein_single_back_len256_dim1_sp_op_CI_CI
	.p2align	8
	.type	bluestein_single_back_len256_dim1_sp_op_CI_CI,@function
bluestein_single_back_len256_dim1_sp_op_CI_CI: ; @bluestein_single_back_len256_dim1_sp_op_CI_CI
; %bb.0:
	s_load_b128 s[12:15], s[0:1], 0x28
	s_mov_b32 s2, ttmp9
	s_mov_b32 s3, 0
	s_mov_b32 s5, exec_lo
	s_wait_kmcnt 0x0
	v_cmpx_lt_u64_e64 s[2:3], s[12:13]
	s_cbranch_execz .LBB0_2
; %bb.1:
	s_clause 0x1
	s_load_b128 s[4:7], s[0:1], 0x18
	s_load_b128 s[8:11], s[0:1], 0x0
	v_dual_mov_b32 v10, s3 :: v_dual_mov_b32 v9, s2
	v_lshlrev_b32_e32 v10, 3, v0
	s_load_b64 s[0:1], s[0:1], 0x38
	v_lshlrev_b32_e32 v46, 5, v0
	v_and_b32_e32 v28, 15, v0
	s_wait_kmcnt 0x0
	s_load_b128 s[16:19], s[4:5], 0x0
	s_wait_kmcnt 0x0
	v_mad_co_u64_u32 v[1:2], null, s18, v9, 0
	v_mad_co_u64_u32 v[3:4], null, s16, v0, 0
	s_lshl_b64 s[2:3], s[16:17], 9
	s_delay_alu instid0(VALU_DEP_1) | instskip(NEXT) | instid1(VALU_DEP_1)
	v_mad_co_u64_u32 v[5:6], null, s19, v9, v[2:3]
	v_mad_co_u64_u32 v[6:7], null, s17, v0, v[4:5]
	v_mov_b32_e32 v2, v5
	s_delay_alu instid0(VALU_DEP_1) | instskip(NEXT) | instid1(VALU_DEP_3)
	v_lshlrev_b64_e32 v[1:2], 3, v[1:2]
	v_mov_b32_e32 v4, v6
	s_delay_alu instid0(VALU_DEP_1) | instskip(NEXT) | instid1(VALU_DEP_3)
	v_lshlrev_b64_e32 v[5:6], 3, v[3:4]
	v_add_co_u32 v7, vcc_lo, s14, v1
	s_delay_alu instid0(VALU_DEP_4)
	v_add_co_ci_u32_e32 v8, vcc_lo, s15, v2, vcc_lo
	s_clause 0x1
	global_load_b64 v[1:2], v10, s[8:9]
	global_load_b64 v[3:4], v10, s[8:9] offset:512
	v_add_co_u32 v5, vcc_lo, v7, v5
	s_wait_alu 0xfffd
	v_add_co_ci_u32_e32 v6, vcc_lo, v8, v6, vcc_lo
	s_wait_alu 0xfffe
	s_delay_alu instid0(VALU_DEP_2)
	v_add_co_u32 v7, vcc_lo, v5, s2
	global_load_b64 v[11:12], v[5:6], off
	s_wait_alu 0xfffd
	v_add_co_ci_u32_e32 v8, vcc_lo, s3, v6, vcc_lo
	global_load_b64 v[13:14], v[7:8], off
	v_add_co_u32 v5, vcc_lo, v7, s2
	s_wait_alu 0xfffd
	v_add_co_ci_u32_e32 v6, vcc_lo, s3, v8, vcc_lo
	s_delay_alu instid0(VALU_DEP_2) | instskip(SKIP_1) | instid1(VALU_DEP_2)
	v_add_co_u32 v15, vcc_lo, v5, s2
	s_wait_alu 0xfffd
	v_add_co_ci_u32_e32 v16, vcc_lo, s3, v6, vcc_lo
	s_add_nc_u64 s[2:3], s[8:9], 0x800
	s_wait_loadcnt 0x1
	v_mul_f32_e32 v19, v12, v2
	s_delay_alu instid0(VALU_DEP_1)
	v_fmac_f32_e32 v19, v11, v1
	global_load_b64 v[17:18], v[5:6], off
	s_clause 0x1
	global_load_b64 v[5:6], v10, s[8:9] offset:1024
	global_load_b64 v[7:8], v10, s[8:9] offset:1536
	global_load_b64 v[15:16], v[15:16], off
	s_wait_loadcnt 0x4
	v_dual_mul_f32 v21, v14, v4 :: v_dual_mul_f32 v20, v11, v2
	s_load_b128 s[4:7], s[6:7], 0x0
	s_delay_alu instid0(VALU_DEP_1) | instskip(NEXT) | instid1(VALU_DEP_2)
	v_fmac_f32_e32 v21, v13, v3
	v_fma_f32 v20, v12, v1, -v20
	s_wait_loadcnt 0x2
	v_dual_mul_f32 v12, v13, v4 :: v_dual_mul_f32 v11, v18, v6
	s_wait_loadcnt 0x0
	v_dual_mul_f32 v23, v17, v6 :: v_dual_mul_f32 v24, v15, v8
	v_mul_f32_e32 v13, v16, v8
	s_delay_alu instid0(VALU_DEP_3) | instskip(SKIP_1) | instid1(VALU_DEP_4)
	v_fma_f32 v22, v14, v3, -v12
	v_fmac_f32_e32 v11, v17, v5
	v_fma_f32 v12, v18, v5, -v23
	v_fma_f32 v14, v16, v7, -v24
	v_fmac_f32_e32 v13, v15, v7
	ds_store_2addr_stride64_b64 v10, v[19:20], v[21:22] offset1:1
	ds_store_2addr_stride64_b64 v10, v[11:12], v[13:14] offset0:2 offset1:3
	global_wb scope:SCOPE_SE
	s_wait_dscnt 0x0
	s_wait_kmcnt 0x0
	s_barrier_signal -1
	s_barrier_wait -1
	global_inv scope:SCOPE_SE
	ds_load_2addr_stride64_b64 v[11:14], v10 offset1:1
	ds_load_2addr_stride64_b64 v[15:18], v10 offset0:2 offset1:3
	v_and_b32_e32 v23, 3, v0
	global_wb scope:SCOPE_SE
	s_wait_dscnt 0x0
	s_barrier_signal -1
	s_barrier_wait -1
	global_inv scope:SCOPE_SE
	v_mad_co_u64_u32 v[19:20], null, v23, 24, s[10:11]
	v_sub_f32_e32 v16, v12, v16
	v_sub_f32_e32 v18, v14, v18
	s_delay_alu instid0(VALU_DEP_2) | instskip(NEXT) | instid1(VALU_DEP_2)
	v_fma_f32 v22, v12, 2.0, -v16
	v_fma_f32 v12, v14, 2.0, -v18
	s_delay_alu instid0(VALU_DEP_1) | instskip(NEXT) | instid1(VALU_DEP_1)
	v_dual_sub_f32 v17, v13, v17 :: v_dual_sub_f32 v12, v22, v12
	v_dual_sub_f32 v15, v11, v15 :: v_dual_add_f32 v14, v16, v17
	s_delay_alu instid0(VALU_DEP_1) | instskip(SKIP_2) | instid1(VALU_DEP_4)
	v_fma_f32 v21, v11, 2.0, -v15
	v_fma_f32 v11, v13, 2.0, -v17
	v_sub_f32_e32 v13, v15, v18
	v_fma_f32 v18, v16, 2.0, -v14
	v_fma_f32 v16, v22, 2.0, -v12
	s_delay_alu instid0(VALU_DEP_4) | instskip(NEXT) | instid1(VALU_DEP_4)
	v_sub_f32_e32 v11, v21, v11
	v_fma_f32 v17, v15, 2.0, -v13
	s_delay_alu instid0(VALU_DEP_2)
	v_fma_f32 v15, v21, 2.0, -v11
	ds_store_b128 v46, v[15:18]
	ds_store_b128 v46, v[11:14] offset:16
	global_wb scope:SCOPE_SE
	s_wait_dscnt 0x0
	s_barrier_signal -1
	s_barrier_wait -1
	global_inv scope:SCOPE_SE
	s_clause 0x1
	global_load_b128 v[11:14], v[19:20], off
	global_load_b64 v[31:32], v[19:20], off offset:16
	ds_load_2addr_stride64_b64 v[15:18], v10 offset1:1
	ds_load_2addr_stride64_b64 v[19:22], v10 offset0:2 offset1:3
	global_wb scope:SCOPE_SE
	s_wait_loadcnt_dscnt 0x0
	s_barrier_signal -1
	s_barrier_wait -1
	global_inv scope:SCOPE_SE
	v_dual_mul_f32 v24, v18, v12 :: v_dual_mul_f32 v29, v19, v14
	v_mul_f32_e32 v30, v22, v32
	v_dual_mul_f32 v33, v21, v32 :: v_dual_mul_f32 v26, v20, v14
	s_delay_alu instid0(VALU_DEP_3) | instskip(SKIP_1) | instid1(VALU_DEP_2)
	v_fmac_f32_e32 v29, v20, v13
	v_lshlrev_b32_e32 v27, 2, v0
	v_dual_fmac_f32 v33, v22, v31 :: v_dual_sub_f32 v22, v16, v29
	v_mul_f32_e32 v25, v17, v12
	v_fma_f32 v17, v17, v11, -v24
	s_delay_alu instid0(VALU_DEP_4) | instskip(NEXT) | instid1(VALU_DEP_3)
	v_and_or_b32 v20, 0xf0, v27, v23
	v_fmac_f32_e32 v25, v18, v11
	v_fma_f32 v18, v19, v13, -v26
	v_fma_f32 v19, v21, v31, -v30
	v_fma_f32 v26, v16, 2.0, -v22
	v_lshlrev_b32_e32 v47, 3, v20
	v_sub_f32_e32 v23, v25, v33
	s_delay_alu instid0(VALU_DEP_4) | instskip(SKIP_1) | instid1(VALU_DEP_3)
	v_dual_sub_f32 v21, v15, v18 :: v_dual_sub_f32 v18, v17, v19
	v_mad_co_u64_u32 v[19:20], null, v28, 24, s[10:11]
	v_fma_f32 v25, v25, 2.0, -v23
	s_delay_alu instid0(VALU_DEP_3) | instskip(NEXT) | instid1(VALU_DEP_4)
	v_fma_f32 v24, v15, 2.0, -v21
	v_fma_f32 v17, v17, 2.0, -v18
	v_dual_sub_f32 v15, v21, v23 :: v_dual_add_f32 v16, v22, v18
	s_delay_alu instid0(VALU_DEP_4) | instskip(NEXT) | instid1(VALU_DEP_3)
	v_sub_f32_e32 v18, v26, v25
	v_sub_f32_e32 v17, v24, v17
	s_delay_alu instid0(VALU_DEP_3) | instskip(NEXT) | instid1(VALU_DEP_4)
	v_fma_f32 v21, v21, 2.0, -v15
	v_fma_f32 v22, v22, 2.0, -v16
	s_delay_alu instid0(VALU_DEP_3)
	v_fma_f32 v23, v24, 2.0, -v17
	v_fma_f32 v24, v26, 2.0, -v18
	ds_store_2addr_b64 v47, v[17:18], v[15:16] offset0:8 offset1:12
	ds_store_2addr_b64 v47, v[23:24], v[21:22] offset1:4
	global_wb scope:SCOPE_SE
	s_wait_dscnt 0x0
	s_barrier_signal -1
	s_barrier_wait -1
	global_inv scope:SCOPE_SE
	s_clause 0x1
	global_load_b128 v[15:18], v[19:20], off offset:96
	global_load_b64 v[33:34], v[19:20], off offset:112
	ds_load_2addr_stride64_b64 v[19:22], v10 offset1:1
	ds_load_2addr_stride64_b64 v[23:26], v10 offset0:2 offset1:3
	global_wb scope:SCOPE_SE
	s_wait_loadcnt_dscnt 0x0
	s_barrier_signal -1
	s_barrier_wait -1
	global_inv scope:SCOPE_SE
	v_dual_mul_f32 v36, v23, v18 :: v_dual_mul_f32 v29, v22, v16
	v_mul_f32_e32 v30, v21, v16
	v_mul_f32_e32 v38, v25, v34
	;; [unrolled: 1-line block ×3, first 2 shown]
	s_delay_alu instid0(VALU_DEP_4)
	v_fmac_f32_e32 v36, v24, v17
	v_and_or_b32 v24, 0xc0, v27, v28
	v_mul_f32_e32 v37, v26, v34
	v_fma_f32 v21, v21, v15, -v29
	v_fmac_f32_e32 v30, v22, v15
	v_fmac_f32_e32 v38, v26, v33
	v_lshlrev_b32_e32 v48, 3, v24
	v_fma_f32 v22, v23, v17, -v35
	v_fma_f32 v23, v25, v33, -v37
	s_delay_alu instid0(VALU_DEP_4) | instskip(NEXT) | instid1(VALU_DEP_2)
	v_dual_sub_f32 v26, v20, v36 :: v_dual_sub_f32 v27, v30, v38
	v_dual_sub_f32 v25, v19, v22 :: v_dual_sub_f32 v22, v21, v23
	s_delay_alu instid0(VALU_DEP_2) | instskip(NEXT) | instid1(VALU_DEP_3)
	v_fma_f32 v29, v20, 2.0, -v26
	v_fma_f32 v30, v30, 2.0, -v27
	v_mad_co_u64_u32 v[23:24], null, v0, 24, s[10:11]
	s_delay_alu instid0(VALU_DEP_4) | instskip(SKIP_2) | instid1(VALU_DEP_2)
	v_fma_f32 v28, v19, 2.0, -v25
	v_fma_f32 v21, v21, 2.0, -v22
	v_dual_sub_f32 v19, v25, v27 :: v_dual_add_f32 v20, v26, v22
	v_dual_sub_f32 v22, v29, v30 :: v_dual_sub_f32 v21, v28, v21
	s_delay_alu instid0(VALU_DEP_2) | instskip(NEXT) | instid1(VALU_DEP_3)
	v_fma_f32 v25, v25, 2.0, -v19
	v_fma_f32 v26, v26, 2.0, -v20
	s_delay_alu instid0(VALU_DEP_3) | instskip(NEXT) | instid1(VALU_DEP_4)
	v_fma_f32 v27, v28, 2.0, -v21
	v_fma_f32 v28, v29, 2.0, -v22
	ds_store_2addr_b64 v48, v[21:22], v[19:20] offset0:32 offset1:48
	ds_store_2addr_b64 v48, v[27:28], v[25:26] offset1:16
	global_wb scope:SCOPE_SE
	s_wait_dscnt 0x0
	s_barrier_signal -1
	s_barrier_wait -1
	global_inv scope:SCOPE_SE
	s_clause 0x1
	global_load_b128 v[19:22], v[23:24], off offset:480
	global_load_b64 v[35:36], v[23:24], off offset:496
	ds_load_2addr_stride64_b64 v[23:26], v10 offset1:1
	ds_load_2addr_stride64_b64 v[27:30], v10 offset0:2 offset1:3
	s_wait_loadcnt_dscnt 0x100
	v_dual_mul_f32 v38, v25, v20 :: v_dual_mul_f32 v39, v28, v22
	v_dual_mul_f32 v40, v27, v22 :: v_dual_mul_f32 v37, v26, v20
	s_wait_loadcnt 0x0
	v_mul_f32_e32 v42, v29, v36
	s_delay_alu instid0(VALU_DEP_3) | instskip(SKIP_4) | instid1(VALU_DEP_4)
	v_fmac_f32_e32 v38, v26, v19
	v_fma_f32 v26, v27, v21, -v39
	v_dual_fmac_f32 v40, v28, v21 :: v_dual_mul_f32 v41, v30, v36
	v_fma_f32 v25, v25, v19, -v37
	v_fmac_f32_e32 v42, v30, v35
	v_sub_f32_e32 v28, v23, v26
	s_delay_alu instid0(VALU_DEP_4) | instskip(SKIP_1) | instid1(VALU_DEP_3)
	v_fma_f32 v27, v29, v35, -v41
	v_sub_f32_e32 v29, v24, v40
	v_fma_f32 v30, v23, 2.0, -v28
	s_delay_alu instid0(VALU_DEP_3) | instskip(NEXT) | instid1(VALU_DEP_3)
	v_dual_sub_f32 v26, v25, v27 :: v_dual_sub_f32 v27, v38, v42
	v_fma_f32 v37, v24, 2.0, -v29
	s_delay_alu instid0(VALU_DEP_2) | instskip(NEXT) | instid1(VALU_DEP_3)
	v_fma_f32 v25, v25, 2.0, -v26
	v_fma_f32 v38, v38, 2.0, -v27
	v_dual_sub_f32 v23, v28, v27 :: v_dual_add_f32 v24, v29, v26
	s_delay_alu instid0(VALU_DEP_2) | instskip(NEXT) | instid1(VALU_DEP_2)
	v_dual_sub_f32 v25, v30, v25 :: v_dual_sub_f32 v26, v37, v38
	v_fma_f32 v27, v28, 2.0, -v23
	s_delay_alu instid0(VALU_DEP_3) | instskip(NEXT) | instid1(VALU_DEP_3)
	v_fma_f32 v28, v29, 2.0, -v24
	v_fma_f32 v29, v30, 2.0, -v25
	s_delay_alu instid0(VALU_DEP_4)
	v_fma_f32 v30, v37, 2.0, -v26
	ds_store_2addr_stride64_b64 v10, v[29:30], v[27:28] offset1:1
	ds_store_2addr_stride64_b64 v10, v[25:26], v[23:24] offset0:2 offset1:3
	global_wb scope:SCOPE_SE
	s_wait_dscnt 0x0
	s_barrier_signal -1
	s_barrier_wait -1
	global_inv scope:SCOPE_SE
	s_clause 0x3
	global_load_b64 v[37:38], v10, s[8:9] offset:2048
	global_load_b64 v[39:40], v10, s[2:3] offset:512
	;; [unrolled: 1-line block ×4, first 2 shown]
	ds_load_2addr_stride64_b64 v[23:26], v10 offset1:1
	ds_load_2addr_stride64_b64 v[27:30], v10 offset0:2 offset1:3
	s_wait_loadcnt_dscnt 0x201
	v_dual_mul_f32 v49, v24, v38 :: v_dual_mul_f32 v50, v26, v40
	v_dual_mul_f32 v45, v23, v38 :: v_dual_mul_f32 v38, v25, v40
	s_wait_loadcnt_dscnt 0x0
	v_dual_mul_f32 v51, v28, v42 :: v_dual_mul_f32 v52, v30, v44
	s_delay_alu instid0(VALU_DEP_2)
	v_dual_mul_f32 v40, v27, v42 :: v_dual_fmac_f32 v45, v24, v37
	v_mul_f32_e32 v42, v29, v44
	v_fma_f32 v44, v23, v37, -v49
	v_fma_f32 v37, v25, v39, -v50
	v_fmac_f32_e32 v38, v26, v39
	v_fma_f32 v39, v27, v41, -v51
	v_fmac_f32_e32 v40, v28, v41
	;; [unrolled: 2-line block ×3, first 2 shown]
	ds_store_2addr_stride64_b64 v10, v[44:45], v[37:38] offset1:1
	ds_store_2addr_stride64_b64 v10, v[39:40], v[41:42] offset0:2 offset1:3
	global_wb scope:SCOPE_SE
	s_wait_dscnt 0x0
	s_barrier_signal -1
	s_barrier_wait -1
	global_inv scope:SCOPE_SE
	ds_load_2addr_stride64_b64 v[23:26], v10 offset1:1
	ds_load_2addr_stride64_b64 v[27:30], v10 offset0:2 offset1:3
	global_wb scope:SCOPE_SE
	s_wait_dscnt 0x0
	s_barrier_signal -1
	s_barrier_wait -1
	global_inv scope:SCOPE_SE
	v_sub_f32_e32 v27, v23, v27
	v_dual_sub_f32 v29, v25, v29 :: v_dual_sub_f32 v30, v26, v30
	s_delay_alu instid0(VALU_DEP_2) | instskip(NEXT) | instid1(VALU_DEP_2)
	v_fma_f32 v37, v23, 2.0, -v27
	v_fma_f32 v23, v25, 2.0, -v29
	s_delay_alu instid0(VALU_DEP_3) | instskip(NEXT) | instid1(VALU_DEP_2)
	v_dual_sub_f32 v28, v24, v28 :: v_dual_add_f32 v25, v27, v30
	v_sub_f32_e32 v23, v37, v23
	s_delay_alu instid0(VALU_DEP_2) | instskip(SKIP_4) | instid1(VALU_DEP_4)
	v_fma_f32 v38, v24, 2.0, -v28
	v_fma_f32 v24, v26, 2.0, -v30
	v_sub_f32_e32 v26, v28, v29
	v_fma_f32 v29, v27, 2.0, -v25
	v_fma_f32 v27, v37, 2.0, -v23
	v_sub_f32_e32 v24, v38, v24
	s_delay_alu instid0(VALU_DEP_4) | instskip(NEXT) | instid1(VALU_DEP_2)
	v_fma_f32 v30, v28, 2.0, -v26
	v_fma_f32 v28, v38, 2.0, -v24
	ds_store_b128 v46, v[27:30]
	ds_store_b128 v46, v[23:26] offset:16
	global_wb scope:SCOPE_SE
	s_wait_dscnt 0x0
	s_barrier_signal -1
	s_barrier_wait -1
	global_inv scope:SCOPE_SE
	ds_load_2addr_stride64_b64 v[23:26], v10 offset1:1
	ds_load_2addr_stride64_b64 v[27:30], v10 offset0:2 offset1:3
	global_wb scope:SCOPE_SE
	s_wait_dscnt 0x0
	s_barrier_signal -1
	s_barrier_wait -1
	global_inv scope:SCOPE_SE
	v_mul_f32_e32 v37, v12, v26
	v_mul_f32_e32 v39, v32, v30
	;; [unrolled: 1-line block ×5, first 2 shown]
	v_fmac_f32_e32 v37, v11, v25
	v_fmac_f32_e32 v39, v31, v29
	v_fma_f32 v11, v11, v26, -v12
	v_mul_f32_e32 v14, v14, v27
	v_fmac_f32_e32 v38, v13, v27
	s_delay_alu instid0(VALU_DEP_2) | instskip(SKIP_1) | instid1(VALU_DEP_3)
	v_fma_f32 v12, v13, v28, -v14
	v_fma_f32 v13, v31, v30, -v32
	v_sub_f32_e32 v25, v23, v38
	s_delay_alu instid0(VALU_DEP_2) | instskip(SKIP_1) | instid1(VALU_DEP_3)
	v_dual_sub_f32 v13, v11, v13 :: v_dual_sub_f32 v26, v24, v12
	v_sub_f32_e32 v12, v37, v39
	v_fma_f32 v27, v23, 2.0, -v25
	s_delay_alu instid0(VALU_DEP_3) | instskip(SKIP_3) | instid1(VALU_DEP_1)
	v_fma_f32 v23, v11, 2.0, -v13
	v_add_f32_e32 v11, v25, v13
	v_fma_f32 v28, v24, 2.0, -v26
	v_fma_f32 v14, v37, 2.0, -v12
	v_dual_sub_f32 v12, v26, v12 :: v_dual_sub_f32 v13, v27, v14
	s_delay_alu instid0(VALU_DEP_3) | instskip(SKIP_1) | instid1(VALU_DEP_3)
	v_sub_f32_e32 v14, v28, v23
	v_fma_f32 v23, v25, 2.0, -v11
	v_fma_f32 v24, v26, 2.0, -v12
	s_delay_alu instid0(VALU_DEP_4) | instskip(NEXT) | instid1(VALU_DEP_4)
	v_fma_f32 v25, v27, 2.0, -v13
	v_fma_f32 v26, v28, 2.0, -v14
	ds_store_2addr_b64 v47, v[13:14], v[11:12] offset0:8 offset1:12
	ds_store_2addr_b64 v47, v[25:26], v[23:24] offset1:4
	global_wb scope:SCOPE_SE
	s_wait_dscnt 0x0
	s_barrier_signal -1
	s_barrier_wait -1
	global_inv scope:SCOPE_SE
	ds_load_2addr_stride64_b64 v[11:14], v10 offset1:1
	ds_load_2addr_stride64_b64 v[23:26], v10 offset0:2 offset1:3
	global_wb scope:SCOPE_SE
	s_wait_dscnt 0x0
	s_barrier_signal -1
	s_barrier_wait -1
	global_inv scope:SCOPE_SE
	v_dual_mul_f32 v27, v16, v14 :: v_dual_mul_f32 v28, v18, v24
	v_mul_f32_e32 v16, v16, v13
	v_mul_f32_e32 v18, v18, v23
	;; [unrolled: 1-line block ×3, first 2 shown]
	s_delay_alu instid0(VALU_DEP_4) | instskip(NEXT) | instid1(VALU_DEP_4)
	v_dual_fmac_f32 v27, v15, v13 :: v_dual_fmac_f32 v28, v17, v23
	v_fma_f32 v13, v15, v14, -v16
	s_delay_alu instid0(VALU_DEP_4) | instskip(NEXT) | instid1(VALU_DEP_3)
	v_fma_f32 v14, v17, v24, -v18
	v_dual_fmac_f32 v29, v33, v25 :: v_dual_sub_f32 v16, v11, v28
	s_delay_alu instid0(VALU_DEP_2) | instskip(NEXT) | instid1(VALU_DEP_2)
	v_dual_mul_f32 v30, v34, v25 :: v_dual_sub_f32 v17, v12, v14
	v_sub_f32_e32 v14, v27, v29
	s_delay_alu instid0(VALU_DEP_3) | instskip(NEXT) | instid1(VALU_DEP_3)
	v_fma_f32 v18, v11, 2.0, -v16
	v_fma_f32 v15, v33, v26, -v30
	s_delay_alu instid0(VALU_DEP_4) | instskip(NEXT) | instid1(VALU_DEP_4)
	v_fma_f32 v23, v12, 2.0, -v17
	v_fma_f32 v24, v27, 2.0, -v14
	v_sub_f32_e32 v12, v17, v14
	s_delay_alu instid0(VALU_DEP_4) | instskip(NEXT) | instid1(VALU_DEP_1)
	v_sub_f32_e32 v15, v13, v15
	v_fma_f32 v25, v13, 2.0, -v15
	v_add_f32_e32 v11, v16, v15
	s_delay_alu instid0(VALU_DEP_2) | instskip(NEXT) | instid1(VALU_DEP_2)
	v_dual_sub_f32 v13, v18, v24 :: v_dual_sub_f32 v14, v23, v25
	v_fma_f32 v15, v16, 2.0, -v11
	v_fma_f32 v16, v17, 2.0, -v12
	s_delay_alu instid0(VALU_DEP_3)
	v_fma_f32 v17, v18, 2.0, -v13
	v_mad_co_u64_u32 v[25:26], null, s4, v0, 0
	v_fma_f32 v18, v23, 2.0, -v14
	ds_store_2addr_b64 v48, v[13:14], v[11:12] offset0:32 offset1:48
	ds_store_2addr_b64 v48, v[17:18], v[15:16] offset1:16
	global_wb scope:SCOPE_SE
	s_wait_dscnt 0x0
	s_barrier_signal -1
	s_barrier_wait -1
	global_inv scope:SCOPE_SE
	ds_load_2addr_stride64_b64 v[11:14], v10 offset1:1
	ds_load_2addr_stride64_b64 v[15:18], v10 offset0:2 offset1:3
	v_mad_co_u64_u32 v[23:24], null, s6, v9, 0
	s_delay_alu instid0(VALU_DEP_1) | instskip(NEXT) | instid1(VALU_DEP_1)
	v_mad_co_u64_u32 v[27:28], null, s7, v9, v[24:25]
	v_mad_co_u64_u32 v[28:29], null, s5, v0, v[26:27]
	s_wait_dscnt 0x1
	v_mul_f32_e32 v9, v20, v13
	s_wait_dscnt 0x0
	v_mul_f32_e32 v24, v36, v17
	v_mul_f32_e32 v0, v20, v14
	;; [unrolled: 1-line block ×3, first 2 shown]
	v_fma_f32 v9, v19, v14, -v9
	s_delay_alu instid0(VALU_DEP_4)
	v_fma_f32 v14, v35, v18, -v24
	v_mul_f32_e32 v20, v22, v16
	v_mul_f32_e32 v22, v22, v15
	v_fmac_f32_e32 v0, v19, v13
	v_fmac_f32_e32 v26, v35, v17
	v_mov_b32_e32 v24, v27
	v_fmac_f32_e32 v20, v21, v15
	v_fma_f32 v13, v21, v16, -v22
	s_delay_alu instid0(VALU_DEP_4) | instskip(NEXT) | instid1(VALU_DEP_3)
	v_sub_f32_e32 v15, v0, v26
	v_dual_mov_b32 v26, v28 :: v_dual_sub_f32 v19, v11, v20
	s_delay_alu instid0(VALU_DEP_3) | instskip(NEXT) | instid1(VALU_DEP_3)
	v_dual_sub_f32 v20, v12, v13 :: v_dual_sub_f32 v13, v9, v14
	v_fma_f32 v0, v0, 2.0, -v15
	s_delay_alu instid0(VALU_DEP_3) | instskip(NEXT) | instid1(VALU_DEP_4)
	v_lshlrev_b64_e32 v[17:18], 3, v[25:26]
	v_fma_f32 v21, v11, 2.0, -v19
	s_delay_alu instid0(VALU_DEP_4) | instskip(SKIP_3) | instid1(VALU_DEP_3)
	v_fma_f32 v22, v12, 2.0, -v20
	v_fma_f32 v9, v9, 2.0, -v13
	v_lshlrev_b64_e32 v[11:12], 3, v[23:24]
	v_dual_add_f32 v13, v19, v13 :: v_dual_sub_f32 v14, v20, v15
	v_dual_sub_f32 v15, v21, v0 :: v_dual_sub_f32 v16, v22, v9
	s_delay_alu instid0(VALU_DEP_2) | instskip(NEXT) | instid1(VALU_DEP_3)
	v_fma_f32 v19, v19, 2.0, -v13
	v_fma_f32 v20, v20, 2.0, -v14
	s_delay_alu instid0(VALU_DEP_3) | instskip(NEXT) | instid1(VALU_DEP_4)
	v_fma_f32 v21, v21, 2.0, -v15
	v_fma_f32 v22, v22, 2.0, -v16
	v_add_co_u32 v0, vcc_lo, s0, v11
	s_wait_alu 0xfffd
	v_add_co_ci_u32_e32 v9, vcc_lo, s1, v12, vcc_lo
	ds_store_2addr_stride64_b64 v10, v[21:22], v[19:20] offset1:1
	ds_store_2addr_stride64_b64 v10, v[15:16], v[13:14] offset0:2 offset1:3
	global_wb scope:SCOPE_SE
	s_wait_dscnt 0x0
	s_barrier_signal -1
	s_barrier_wait -1
	global_inv scope:SCOPE_SE
	ds_load_2addr_stride64_b64 v[11:14], v10 offset1:1
	v_add_co_u32 v19, vcc_lo, v0, v17
	s_wait_alu 0xfffd
	v_add_co_ci_u32_e32 v20, vcc_lo, v9, v18, vcc_lo
	ds_load_2addr_stride64_b64 v[15:18], v10 offset0:2 offset1:3
	s_lshl_b64 s[0:1], s[4:5], 9
	s_wait_alu 0xfffe
	v_add_co_u32 v9, vcc_lo, v19, s0
	s_wait_alu 0xfffd
	v_add_co_ci_u32_e32 v10, vcc_lo, s1, v20, vcc_lo
	s_delay_alu instid0(VALU_DEP_2) | instskip(SKIP_1) | instid1(VALU_DEP_2)
	v_add_co_u32 v21, vcc_lo, v9, s0
	s_wait_alu 0xfffd
	v_add_co_ci_u32_e32 v22, vcc_lo, s1, v10, vcc_lo
	s_delay_alu instid0(VALU_DEP_2)
	v_add_co_u32 v23, vcc_lo, v21, s0
	s_wait_dscnt 0x1
	v_mul_f32_e32 v0, v2, v12
	v_dual_mul_f32 v2, v2, v11 :: v_dual_mul_f32 v25, v4, v14
	v_mul_f32_e32 v4, v4, v13
	s_wait_alu 0xfffd
	v_add_co_ci_u32_e32 v24, vcc_lo, s1, v22, vcc_lo
	s_wait_dscnt 0x0
	v_mul_f32_e32 v26, v6, v16
	v_dual_mul_f32 v6, v6, v15 :: v_dual_mul_f32 v27, v8, v18
	v_mul_f32_e32 v8, v8, v17
	v_fmac_f32_e32 v0, v1, v11
	v_fma_f32 v1, v1, v12, -v2
	v_fmac_f32_e32 v25, v3, v13
	v_fma_f32 v3, v3, v14, -v4
	;; [unrolled: 2-line block ×4, first 2 shown]
	v_dual_mul_f32 v0, 0x3b800000, v0 :: v_dual_mul_f32 v1, 0x3b800000, v1
	v_dual_mul_f32 v2, 0x3b800000, v25 :: v_dual_mul_f32 v3, 0x3b800000, v3
	;; [unrolled: 1-line block ×3, first 2 shown]
	v_mul_f32_e32 v6, 0x3b800000, v27
	v_mul_f32_e32 v7, 0x3b800000, v7
	s_clause 0x3
	global_store_b64 v[19:20], v[0:1], off
	global_store_b64 v[9:10], v[2:3], off
	global_store_b64 v[21:22], v[4:5], off
	global_store_b64 v[23:24], v[6:7], off
.LBB0_2:
	s_nop 0
	s_sendmsg sendmsg(MSG_DEALLOC_VGPRS)
	s_endpgm
	.section	.rodata,"a",@progbits
	.p2align	6, 0x0
	.amdhsa_kernel bluestein_single_back_len256_dim1_sp_op_CI_CI
		.amdhsa_group_segment_fixed_size 2048
		.amdhsa_private_segment_fixed_size 0
		.amdhsa_kernarg_size 104
		.amdhsa_user_sgpr_count 2
		.amdhsa_user_sgpr_dispatch_ptr 0
		.amdhsa_user_sgpr_queue_ptr 0
		.amdhsa_user_sgpr_kernarg_segment_ptr 1
		.amdhsa_user_sgpr_dispatch_id 0
		.amdhsa_user_sgpr_private_segment_size 0
		.amdhsa_wavefront_size32 1
		.amdhsa_uses_dynamic_stack 0
		.amdhsa_enable_private_segment 0
		.amdhsa_system_sgpr_workgroup_id_x 1
		.amdhsa_system_sgpr_workgroup_id_y 0
		.amdhsa_system_sgpr_workgroup_id_z 0
		.amdhsa_system_sgpr_workgroup_info 0
		.amdhsa_system_vgpr_workitem_id 0
		.amdhsa_next_free_vgpr 53
		.amdhsa_next_free_sgpr 20
		.amdhsa_reserve_vcc 1
		.amdhsa_float_round_mode_32 0
		.amdhsa_float_round_mode_16_64 0
		.amdhsa_float_denorm_mode_32 3
		.amdhsa_float_denorm_mode_16_64 3
		.amdhsa_fp16_overflow 0
		.amdhsa_workgroup_processor_mode 1
		.amdhsa_memory_ordered 1
		.amdhsa_forward_progress 0
		.amdhsa_round_robin_scheduling 0
		.amdhsa_exception_fp_ieee_invalid_op 0
		.amdhsa_exception_fp_denorm_src 0
		.amdhsa_exception_fp_ieee_div_zero 0
		.amdhsa_exception_fp_ieee_overflow 0
		.amdhsa_exception_fp_ieee_underflow 0
		.amdhsa_exception_fp_ieee_inexact 0
		.amdhsa_exception_int_div_zero 0
	.end_amdhsa_kernel
	.text
.Lfunc_end0:
	.size	bluestein_single_back_len256_dim1_sp_op_CI_CI, .Lfunc_end0-bluestein_single_back_len256_dim1_sp_op_CI_CI
                                        ; -- End function
	.section	.AMDGPU.csdata,"",@progbits
; Kernel info:
; codeLenInByte = 3368
; NumSgprs: 22
; NumVgprs: 53
; ScratchSize: 0
; MemoryBound: 0
; FloatMode: 240
; IeeeMode: 1
; LDSByteSize: 2048 bytes/workgroup (compile time only)
; SGPRBlocks: 2
; VGPRBlocks: 6
; NumSGPRsForWavesPerEU: 22
; NumVGPRsForWavesPerEU: 53
; Occupancy: 16
; WaveLimiterHint : 1
; COMPUTE_PGM_RSRC2:SCRATCH_EN: 0
; COMPUTE_PGM_RSRC2:USER_SGPR: 2
; COMPUTE_PGM_RSRC2:TRAP_HANDLER: 0
; COMPUTE_PGM_RSRC2:TGID_X_EN: 1
; COMPUTE_PGM_RSRC2:TGID_Y_EN: 0
; COMPUTE_PGM_RSRC2:TGID_Z_EN: 0
; COMPUTE_PGM_RSRC2:TIDIG_COMP_CNT: 0
	.text
	.p2alignl 7, 3214868480
	.fill 96, 4, 3214868480
	.type	__hip_cuid_5f708780f2ab5b64,@object ; @__hip_cuid_5f708780f2ab5b64
	.section	.bss,"aw",@nobits
	.globl	__hip_cuid_5f708780f2ab5b64
__hip_cuid_5f708780f2ab5b64:
	.byte	0                               ; 0x0
	.size	__hip_cuid_5f708780f2ab5b64, 1

	.ident	"AMD clang version 19.0.0git (https://github.com/RadeonOpenCompute/llvm-project roc-6.4.0 25133 c7fe45cf4b819c5991fe208aaa96edf142730f1d)"
	.section	".note.GNU-stack","",@progbits
	.addrsig
	.addrsig_sym __hip_cuid_5f708780f2ab5b64
	.amdgpu_metadata
---
amdhsa.kernels:
  - .args:
      - .actual_access:  read_only
        .address_space:  global
        .offset:         0
        .size:           8
        .value_kind:     global_buffer
      - .actual_access:  read_only
        .address_space:  global
        .offset:         8
        .size:           8
        .value_kind:     global_buffer
      - .actual_access:  read_only
        .address_space:  global
        .offset:         16
        .size:           8
        .value_kind:     global_buffer
      - .actual_access:  read_only
        .address_space:  global
        .offset:         24
        .size:           8
        .value_kind:     global_buffer
      - .actual_access:  read_only
        .address_space:  global
        .offset:         32
        .size:           8
        .value_kind:     global_buffer
      - .offset:         40
        .size:           8
        .value_kind:     by_value
      - .address_space:  global
        .offset:         48
        .size:           8
        .value_kind:     global_buffer
      - .address_space:  global
        .offset:         56
        .size:           8
        .value_kind:     global_buffer
      - .address_space:  global
        .offset:         64
        .size:           8
        .value_kind:     global_buffer
      - .address_space:  global
        .offset:         72
        .size:           8
        .value_kind:     global_buffer
      - .offset:         80
        .size:           4
        .value_kind:     by_value
      - .address_space:  global
        .offset:         88
        .size:           8
        .value_kind:     global_buffer
      - .address_space:  global
        .offset:         96
        .size:           8
        .value_kind:     global_buffer
    .group_segment_fixed_size: 2048
    .kernarg_segment_align: 8
    .kernarg_segment_size: 104
    .language:       OpenCL C
    .language_version:
      - 2
      - 0
    .max_flat_workgroup_size: 64
    .name:           bluestein_single_back_len256_dim1_sp_op_CI_CI
    .private_segment_fixed_size: 0
    .sgpr_count:     22
    .sgpr_spill_count: 0
    .symbol:         bluestein_single_back_len256_dim1_sp_op_CI_CI.kd
    .uniform_work_group_size: 1
    .uses_dynamic_stack: false
    .vgpr_count:     53
    .vgpr_spill_count: 0
    .wavefront_size: 32
    .workgroup_processor_mode: 1
amdhsa.target:   amdgcn-amd-amdhsa--gfx1201
amdhsa.version:
  - 1
  - 2
...

	.end_amdgpu_metadata
